;; amdgpu-corpus repo=ROCm/rocFFT kind=compiled arch=gfx906 opt=O3
	.text
	.amdgcn_target "amdgcn-amd-amdhsa--gfx906"
	.amdhsa_code_object_version 6
	.protected	fft_rtc_fwd_len273_factors_13_3_7_wgs_52_tpt_13_sp_op_CI_CI_unitstride_sbrr_dirReg ; -- Begin function fft_rtc_fwd_len273_factors_13_3_7_wgs_52_tpt_13_sp_op_CI_CI_unitstride_sbrr_dirReg
	.globl	fft_rtc_fwd_len273_factors_13_3_7_wgs_52_tpt_13_sp_op_CI_CI_unitstride_sbrr_dirReg
	.p2align	8
	.type	fft_rtc_fwd_len273_factors_13_3_7_wgs_52_tpt_13_sp_op_CI_CI_unitstride_sbrr_dirReg,@function
fft_rtc_fwd_len273_factors_13_3_7_wgs_52_tpt_13_sp_op_CI_CI_unitstride_sbrr_dirReg: ; @fft_rtc_fwd_len273_factors_13_3_7_wgs_52_tpt_13_sp_op_CI_CI_unitstride_sbrr_dirReg
; %bb.0:
	s_load_dwordx4 s[8:11], s[4:5], 0x58
	s_load_dwordx4 s[12:15], s[4:5], 0x0
	;; [unrolled: 1-line block ×3, first 2 shown]
	v_mul_u32_u24_e32 v1, 0x13b2, v0
	v_lshrrev_b32_e32 v7, 16, v1
	v_mov_b32_e32 v3, 0
	s_waitcnt lgkmcnt(0)
	v_cmp_lt_u64_e64 s[0:1], s[14:15], 2
	v_mov_b32_e32 v1, 0
	v_lshl_add_u32 v5, s6, 2, v7
	v_mov_b32_e32 v6, v3
	s_and_b64 vcc, exec, s[0:1]
	v_mov_b32_e32 v2, 0
	s_cbranch_vccnz .LBB0_8
; %bb.1:
	s_load_dwordx2 s[0:1], s[4:5], 0x10
	s_add_u32 s2, s18, 8
	s_addc_u32 s3, s19, 0
	s_add_u32 s6, s16, 8
	v_mov_b32_e32 v1, 0
	s_addc_u32 s7, s17, 0
	v_mov_b32_e32 v2, 0
	s_waitcnt lgkmcnt(0)
	s_add_u32 s20, s0, 8
	v_mov_b32_e32 v49, v2
	s_addc_u32 s21, s1, 0
	s_mov_b64 s[22:23], 1
	v_mov_b32_e32 v48, v1
.LBB0_2:                                ; =>This Inner Loop Header: Depth=1
	s_load_dwordx2 s[24:25], s[20:21], 0x0
                                        ; implicit-def: $vgpr51_vgpr52
	s_waitcnt lgkmcnt(0)
	v_or_b32_e32 v4, s25, v6
	v_cmp_ne_u64_e32 vcc, 0, v[3:4]
	s_and_saveexec_b64 s[0:1], vcc
	s_xor_b64 s[26:27], exec, s[0:1]
	s_cbranch_execz .LBB0_4
; %bb.3:                                ;   in Loop: Header=BB0_2 Depth=1
	v_cvt_f32_u32_e32 v4, s24
	v_cvt_f32_u32_e32 v8, s25
	s_sub_u32 s0, 0, s24
	s_subb_u32 s1, 0, s25
	v_mac_f32_e32 v4, 0x4f800000, v8
	v_rcp_f32_e32 v4, v4
	v_mul_f32_e32 v4, 0x5f7ffffc, v4
	v_mul_f32_e32 v8, 0x2f800000, v4
	v_trunc_f32_e32 v8, v8
	v_mac_f32_e32 v4, 0xcf800000, v8
	v_cvt_u32_f32_e32 v8, v8
	v_cvt_u32_f32_e32 v4, v4
	v_mul_lo_u32 v9, s0, v8
	v_mul_hi_u32 v10, s0, v4
	v_mul_lo_u32 v12, s1, v4
	v_mul_lo_u32 v11, s0, v4
	v_add_u32_e32 v9, v10, v9
	v_add_u32_e32 v9, v9, v12
	v_mul_hi_u32 v10, v4, v11
	v_mul_lo_u32 v12, v4, v9
	v_mul_hi_u32 v14, v4, v9
	v_mul_hi_u32 v13, v8, v11
	v_mul_lo_u32 v11, v8, v11
	v_mul_hi_u32 v15, v8, v9
	v_add_co_u32_e32 v10, vcc, v10, v12
	v_addc_co_u32_e32 v12, vcc, 0, v14, vcc
	v_mul_lo_u32 v9, v8, v9
	v_add_co_u32_e32 v10, vcc, v10, v11
	v_addc_co_u32_e32 v10, vcc, v12, v13, vcc
	v_addc_co_u32_e32 v11, vcc, 0, v15, vcc
	v_add_co_u32_e32 v9, vcc, v10, v9
	v_addc_co_u32_e32 v10, vcc, 0, v11, vcc
	v_add_co_u32_e32 v4, vcc, v4, v9
	v_addc_co_u32_e32 v8, vcc, v8, v10, vcc
	v_mul_lo_u32 v9, s0, v8
	v_mul_hi_u32 v10, s0, v4
	v_mul_lo_u32 v11, s1, v4
	v_mul_lo_u32 v12, s0, v4
	v_add_u32_e32 v9, v10, v9
	v_add_u32_e32 v9, v9, v11
	v_mul_lo_u32 v13, v4, v9
	v_mul_hi_u32 v14, v4, v12
	v_mul_hi_u32 v15, v4, v9
	;; [unrolled: 1-line block ×3, first 2 shown]
	v_mul_lo_u32 v12, v8, v12
	v_mul_hi_u32 v10, v8, v9
	v_add_co_u32_e32 v13, vcc, v14, v13
	v_addc_co_u32_e32 v14, vcc, 0, v15, vcc
	v_mul_lo_u32 v9, v8, v9
	v_add_co_u32_e32 v12, vcc, v13, v12
	v_addc_co_u32_e32 v11, vcc, v14, v11, vcc
	v_addc_co_u32_e32 v10, vcc, 0, v10, vcc
	v_add_co_u32_e32 v9, vcc, v11, v9
	v_addc_co_u32_e32 v10, vcc, 0, v10, vcc
	v_add_co_u32_e32 v4, vcc, v4, v9
	v_addc_co_u32_e32 v10, vcc, v8, v10, vcc
	v_mad_u64_u32 v[8:9], s[0:1], v5, v10, 0
	v_mul_hi_u32 v11, v5, v4
	v_add_co_u32_e32 v12, vcc, v11, v8
	v_addc_co_u32_e32 v13, vcc, 0, v9, vcc
	v_mad_u64_u32 v[8:9], s[0:1], v6, v4, 0
	v_mad_u64_u32 v[10:11], s[0:1], v6, v10, 0
	v_add_co_u32_e32 v4, vcc, v12, v8
	v_addc_co_u32_e32 v4, vcc, v13, v9, vcc
	v_addc_co_u32_e32 v8, vcc, 0, v11, vcc
	v_add_co_u32_e32 v4, vcc, v4, v10
	v_addc_co_u32_e32 v10, vcc, 0, v8, vcc
	v_mul_lo_u32 v11, s25, v4
	v_mul_lo_u32 v12, s24, v10
	v_mad_u64_u32 v[8:9], s[0:1], s24, v4, 0
	v_add3_u32 v9, v9, v12, v11
	v_sub_u32_e32 v11, v6, v9
	v_mov_b32_e32 v12, s25
	v_sub_co_u32_e32 v8, vcc, v5, v8
	v_subb_co_u32_e64 v11, s[0:1], v11, v12, vcc
	v_subrev_co_u32_e64 v12, s[0:1], s24, v8
	v_subbrev_co_u32_e64 v11, s[0:1], 0, v11, s[0:1]
	v_cmp_le_u32_e64 s[0:1], s25, v11
	v_cndmask_b32_e64 v13, 0, -1, s[0:1]
	v_cmp_le_u32_e64 s[0:1], s24, v12
	v_cndmask_b32_e64 v12, 0, -1, s[0:1]
	v_cmp_eq_u32_e64 s[0:1], s25, v11
	v_cndmask_b32_e64 v11, v13, v12, s[0:1]
	v_add_co_u32_e64 v12, s[0:1], 2, v4
	v_addc_co_u32_e64 v13, s[0:1], 0, v10, s[0:1]
	v_add_co_u32_e64 v14, s[0:1], 1, v4
	v_addc_co_u32_e64 v15, s[0:1], 0, v10, s[0:1]
	v_subb_co_u32_e32 v9, vcc, v6, v9, vcc
	v_cmp_ne_u32_e64 s[0:1], 0, v11
	v_cmp_le_u32_e32 vcc, s25, v9
	v_cndmask_b32_e64 v11, v15, v13, s[0:1]
	v_cndmask_b32_e64 v13, 0, -1, vcc
	v_cmp_le_u32_e32 vcc, s24, v8
	v_cndmask_b32_e64 v8, 0, -1, vcc
	v_cmp_eq_u32_e32 vcc, s25, v9
	v_cndmask_b32_e32 v8, v13, v8, vcc
	v_cmp_ne_u32_e32 vcc, 0, v8
	v_cndmask_b32_e64 v8, v14, v12, s[0:1]
	v_cndmask_b32_e32 v52, v10, v11, vcc
	v_cndmask_b32_e32 v51, v4, v8, vcc
.LBB0_4:                                ;   in Loop: Header=BB0_2 Depth=1
	s_andn2_saveexec_b64 s[0:1], s[26:27]
	s_cbranch_execz .LBB0_6
; %bb.5:                                ;   in Loop: Header=BB0_2 Depth=1
	v_cvt_f32_u32_e32 v4, s24
	s_sub_i32 s26, 0, s24
	v_mov_b32_e32 v52, v3
	v_rcp_iflag_f32_e32 v4, v4
	v_mul_f32_e32 v4, 0x4f7ffffe, v4
	v_cvt_u32_f32_e32 v4, v4
	v_mul_lo_u32 v8, s26, v4
	v_mul_hi_u32 v8, v4, v8
	v_add_u32_e32 v4, v4, v8
	v_mul_hi_u32 v4, v5, v4
	v_mul_lo_u32 v8, v4, s24
	v_add_u32_e32 v9, 1, v4
	v_sub_u32_e32 v8, v5, v8
	v_subrev_u32_e32 v10, s24, v8
	v_cmp_le_u32_e32 vcc, s24, v8
	v_cndmask_b32_e32 v8, v8, v10, vcc
	v_cndmask_b32_e32 v4, v4, v9, vcc
	v_add_u32_e32 v9, 1, v4
	v_cmp_le_u32_e32 vcc, s24, v8
	v_cndmask_b32_e32 v51, v4, v9, vcc
.LBB0_6:                                ;   in Loop: Header=BB0_2 Depth=1
	s_or_b64 exec, exec, s[0:1]
	v_mul_lo_u32 v4, v52, s24
	v_mul_lo_u32 v10, v51, s25
	v_mad_u64_u32 v[8:9], s[0:1], v51, s24, 0
	s_load_dwordx2 s[0:1], s[6:7], 0x0
	s_load_dwordx2 s[24:25], s[2:3], 0x0
	v_add3_u32 v4, v9, v10, v4
	v_sub_co_u32_e32 v5, vcc, v5, v8
	v_subb_co_u32_e32 v4, vcc, v6, v4, vcc
	s_waitcnt lgkmcnt(0)
	v_mul_lo_u32 v6, s0, v4
	v_mul_lo_u32 v8, s1, v5
	v_mad_u64_u32 v[1:2], s[0:1], s0, v5, v[1:2]
	v_mul_lo_u32 v4, s24, v4
	v_mul_lo_u32 v9, s25, v5
	v_mad_u64_u32 v[48:49], s[0:1], s24, v5, v[48:49]
	s_add_u32 s22, s22, 1
	s_addc_u32 s23, s23, 0
	s_add_u32 s2, s2, 8
	v_add3_u32 v49, v9, v49, v4
	s_addc_u32 s3, s3, 0
	v_mov_b32_e32 v4, s14
	s_add_u32 s6, s6, 8
	v_mov_b32_e32 v5, s15
	s_addc_u32 s7, s7, 0
	v_cmp_ge_u64_e32 vcc, s[22:23], v[4:5]
	s_add_u32 s20, s20, 8
	v_add3_u32 v2, v8, v2, v6
	s_addc_u32 s21, s21, 0
	s_cbranch_vccnz .LBB0_9
; %bb.7:                                ;   in Loop: Header=BB0_2 Depth=1
	v_mov_b32_e32 v5, v51
	v_mov_b32_e32 v6, v52
	s_branch .LBB0_2
.LBB0_8:
	v_mov_b32_e32 v49, v2
	v_mov_b32_e32 v52, v6
	;; [unrolled: 1-line block ×4, first 2 shown]
.LBB0_9:
	s_load_dwordx2 s[0:1], s[4:5], 0x28
	s_lshl_b64 s[6:7], s[14:15], 3
	s_add_u32 s2, s18, s6
	s_addc_u32 s3, s19, s7
	v_and_b32_e32 v3, 3, v7
	s_waitcnt lgkmcnt(0)
	v_cmp_gt_u64_e32 vcc, s[0:1], v[51:52]
	v_cmp_le_u64_e64 s[0:1], s[0:1], v[51:52]
                                        ; implicit-def: $vgpr50
                                        ; implicit-def: $vgpr59
	s_and_saveexec_b64 s[4:5], s[0:1]
	s_xor_b64 s[0:1], exec, s[4:5]
; %bb.10:
	s_mov_b32 s4, 0x13b13b14
	v_mul_hi_u32 v1, v0, s4
	v_mul_u32_u24_e32 v1, 13, v1
	v_sub_u32_e32 v50, v0, v1
	v_add_u32_e32 v59, 13, v50
                                        ; implicit-def: $vgpr0
                                        ; implicit-def: $vgpr1_vgpr2
; %bb.11:
	s_or_saveexec_b64 s[4:5], s[0:1]
	v_mul_u32_u24_e32 v3, 0x111, v3
	v_lshlrev_b32_e32 v61, 3, v3
	s_xor_b64 exec, exec, s[4:5]
	s_cbranch_execz .LBB0_13
; %bb.12:
	s_add_u32 s0, s16, s6
	s_addc_u32 s1, s17, s7
	s_load_dwordx2 s[0:1], s[0:1], 0x0
	s_mov_b32 s6, 0x13b13b14
	v_mul_hi_u32 v5, v0, s6
	s_waitcnt lgkmcnt(0)
	v_mul_lo_u32 v6, s1, v51
	v_mul_lo_u32 v7, s0, v52
	v_mad_u64_u32 v[3:4], s[0:1], s0, v51, 0
	v_mul_u32_u24_e32 v5, 13, v5
	v_sub_u32_e32 v50, v0, v5
	v_add3_u32 v4, v4, v7, v6
	v_lshlrev_b64 v[3:4], 3, v[3:4]
	v_mov_b32_e32 v0, s9
	v_add_co_u32_e64 v3, s[0:1], s8, v3
	v_addc_co_u32_e64 v4, s[0:1], v0, v4, s[0:1]
	v_lshlrev_b64 v[0:1], 3, v[1:2]
	v_lshlrev_b32_e32 v44, 3, v50
	v_add_co_u32_e64 v0, s[0:1], v3, v0
	v_addc_co_u32_e64 v1, s[0:1], v4, v1, s[0:1]
	v_add_co_u32_e64 v0, s[0:1], v0, v44
	v_addc_co_u32_e64 v1, s[0:1], 0, v1, s[0:1]
	global_load_dwordx2 v[2:3], v[0:1], off
	global_load_dwordx2 v[4:5], v[0:1], off offset:104
	global_load_dwordx2 v[6:7], v[0:1], off offset:208
	;; [unrolled: 1-line block ×20, first 2 shown]
	v_add_u32_e32 v59, 13, v50
	v_add3_u32 v0, 0, v61, v44
	s_waitcnt vmcnt(19)
	ds_write2_b64 v0, v[2:3], v[4:5] offset1:13
	s_waitcnt vmcnt(17)
	ds_write2_b64 v0, v[6:7], v[8:9] offset0:26 offset1:39
	s_waitcnt vmcnt(15)
	ds_write2_b64 v0, v[10:11], v[12:13] offset0:52 offset1:65
	;; [unrolled: 2-line block ×9, first 2 shown]
	s_waitcnt vmcnt(0)
	ds_write_b64 v0, v[42:43] offset:2080
.LBB0_13:
	s_or_b64 exec, exec, s[4:5]
	v_add_u32_e32 v57, 0, v61
	v_lshlrev_b32_e32 v0, 3, v50
	v_add_u32_e32 v60, v57, v0
	v_add_u32_e32 v0, 0, v0
	;; [unrolled: 1-line block ×3, first 2 shown]
	s_load_dwordx2 s[2:3], s[2:3], 0x0
	s_waitcnt lgkmcnt(0)
	; wave barrier
	s_waitcnt lgkmcnt(0)
	ds_read2_b64 v[0:3], v58 offset0:13 offset1:21
	ds_read2_b64 v[44:47], v58 offset0:34 offset1:42
	;; [unrolled: 1-line block ×9, first 2 shown]
	ds_read_b64 v[62:63], v60
	ds_read2_b64 v[8:11], v58 offset0:202 offset1:210
	ds_read2_b64 v[12:15], v58 offset0:223 offset1:231
	;; [unrolled: 1-line block ×3, first 2 shown]
	ds_read_b64 v[53:54], v58 offset:2120
	s_waitcnt lgkmcnt(4)
	v_add_f32_e32 v55, v62, v2
	v_add_f32_e32 v56, v63, v3
	;; [unrolled: 1-line block ×17, first 2 shown]
	s_waitcnt lgkmcnt(1)
	v_add_f32_e32 v64, v18, v2
	v_sub_f32_e32 v2, v2, v18
	v_add_f32_e32 v56, v56, v7
	v_add_f32_e32 v55, v55, v10
	v_mul_f32_e32 v66, 0xbeedf032, v2
	v_mul_f32_e32 v70, 0xbf52af12, v2
	;; [unrolled: 1-line block ×6, first 2 shown]
	v_add_f32_e32 v56, v56, v11
	v_add_f32_e32 v55, v55, v14
	;; [unrolled: 1-line block ×3, first 2 shown]
	v_sub_f32_e32 v3, v3, v19
	s_mov_b32 s6, 0x3f62ad3f
	v_mov_b32_e32 v67, v66
	s_mov_b32 s7, 0x3f116cb1
	v_mov_b32_e32 v71, v70
	;; [unrolled: 2-line block ×6, first 2 shown]
	v_add_f32_e32 v56, v56, v15
	v_add_f32_e32 v55, v55, v18
	v_mul_f32_e32 v18, 0xbeedf032, v3
	v_fmac_f32_e32 v67, 0x3f62ad3f, v65
	v_fma_f32 v66, v65, s6, -v66
	v_mul_f32_e32 v68, 0xbf52af12, v3
	v_fmac_f32_e32 v71, 0x3f116cb1, v65
	v_fma_f32 v70, v65, s7, -v70
	;; [unrolled: 3-line block ×6, first 2 shown]
	v_add_f32_e32 v56, v56, v19
	v_fma_f32 v19, v64, s6, -v18
	v_add_f32_e32 v67, v63, v67
	v_fmac_f32_e32 v18, 0x3f62ad3f, v64
	v_add_f32_e32 v66, v63, v66
	v_fma_f32 v69, v64, s7, -v68
	v_add_f32_e32 v71, v63, v71
	v_fmac_f32_e32 v68, 0x3f116cb1, v64
	;; [unrolled: 4-line block ×6, first 2 shown]
	v_add_f32_e32 v2, v63, v2
	v_add_f32_e32 v63, v15, v47
	v_sub_f32_e32 v15, v47, v15
	v_add_f32_e32 v19, v62, v19
	v_add_f32_e32 v18, v62, v18
	;; [unrolled: 1-line block ×13, first 2 shown]
	v_sub_f32_e32 v14, v46, v14
	v_mul_f32_e32 v46, 0xbf52af12, v15
	v_fma_f32 v47, v62, s7, -v46
	v_add_f32_e32 v19, v47, v19
	v_mul_f32_e32 v47, 0xbf52af12, v14
	v_fmac_f32_e32 v46, 0x3f116cb1, v62
	v_mov_b32_e32 v64, v47
	v_add_f32_e32 v18, v46, v18
	v_fma_f32 v46, v63, s7, -v47
	v_mul_f32_e32 v47, 0xbf6f5d39, v15
	v_fma_f32 v65, v62, s9, -v47
	v_fmac_f32_e32 v47, 0xbeb58ec6, v62
	v_fmac_f32_e32 v64, 0x3f116cb1, v63
	v_add_f32_e32 v46, v46, v66
	v_mul_f32_e32 v66, 0xbf6f5d39, v14
	v_add_f32_e32 v47, v47, v68
	v_mul_f32_e32 v68, 0xbe750f2a, v15
	v_add_f32_e32 v64, v64, v67
	v_add_f32_e32 v65, v65, v69
	v_mov_b32_e32 v67, v66
	v_fma_f32 v66, v63, s9, -v66
	v_fma_f32 v69, v62, s15, -v68
	v_fmac_f32_e32 v68, 0xbf788fa5, v62
	v_fmac_f32_e32 v67, 0xbeb58ec6, v63
	v_add_f32_e32 v66, v66, v70
	v_mul_f32_e32 v70, 0xbe750f2a, v14
	v_add_f32_e32 v68, v68, v72
	v_mul_f32_e32 v72, 0x3f29c268, v15
	v_add_f32_e32 v67, v67, v71
	v_add_f32_e32 v69, v69, v73
	v_mov_b32_e32 v71, v70
	v_fma_f32 v70, v63, s15, -v70
	;; [unrolled: 11-line block ×3, first 2 shown]
	v_fma_f32 v77, v62, s8, -v76
	v_fmac_f32_e32 v76, 0x3df6dbef, v62
	v_mul_f32_e32 v15, 0x3eedf032, v15
	v_add_f32_e32 v74, v74, v78
	v_mul_f32_e32 v78, 0x3f7e222b, v14
	v_add_f32_e32 v76, v76, v80
	v_fma_f32 v80, v62, s6, -v15
	v_mul_f32_e32 v14, 0x3eedf032, v14
	v_fmac_f32_e32 v15, 0x3f62ad3f, v62
	v_add_f32_e32 v77, v77, v81
	v_mov_b32_e32 v81, v14
	v_add_f32_e32 v3, v15, v3
	v_fma_f32 v14, v63, s6, -v14
	v_add_f32_e32 v15, v11, v43
	v_sub_f32_e32 v11, v43, v11
	v_add_f32_e32 v2, v14, v2
	v_add_f32_e32 v14, v10, v42
	v_sub_f32_e32 v10, v42, v10
	v_mul_f32_e32 v42, 0xbf7e222b, v11
	v_fma_f32 v43, v14, s8, -v42
	v_fmac_f32_e32 v75, 0xbf3f9e67, v63
	v_add_f32_e32 v19, v43, v19
	v_mul_f32_e32 v43, 0xbf7e222b, v10
	v_fmac_f32_e32 v42, 0x3df6dbef, v14
	v_add_f32_e32 v75, v75, v79
	v_mov_b32_e32 v79, v78
	v_mov_b32_e32 v62, v43
	v_add_f32_e32 v18, v42, v18
	v_fma_f32 v42, v15, s8, -v43
	v_mul_f32_e32 v43, 0xbe750f2a, v11
	v_fmac_f32_e32 v79, 0x3df6dbef, v63
	v_fma_f32 v78, v63, s8, -v78
	v_fmac_f32_e32 v81, 0x3f62ad3f, v63
	v_fmac_f32_e32 v62, 0x3df6dbef, v15
	v_add_f32_e32 v42, v42, v46
	v_fma_f32 v46, v14, s15, -v43
	v_mul_f32_e32 v63, 0xbe750f2a, v10
	v_fmac_f32_e32 v43, 0xbf788fa5, v14
	v_add_f32_e32 v62, v62, v64
	v_mov_b32_e32 v64, v63
	v_add_f32_e32 v43, v43, v47
	v_fma_f32 v47, v15, s15, -v63
	v_mul_f32_e32 v63, 0x3f6f5d39, v11
	v_add_f32_e32 v46, v46, v65
	v_fma_f32 v65, v14, s9, -v63
	v_fmac_f32_e32 v63, 0xbeb58ec6, v14
	v_fmac_f32_e32 v64, 0xbf788fa5, v15
	v_add_f32_e32 v47, v47, v66
	v_mul_f32_e32 v66, 0x3f6f5d39, v10
	v_add_f32_e32 v63, v63, v68
	v_mul_f32_e32 v68, 0x3eedf032, v11
	v_add_f32_e32 v64, v64, v67
	v_add_f32_e32 v65, v65, v69
	v_mov_b32_e32 v67, v66
	v_fma_f32 v66, v15, s9, -v66
	v_fma_f32 v69, v14, s6, -v68
	v_fmac_f32_e32 v68, 0x3f62ad3f, v14
	v_fmac_f32_e32 v67, 0xbeb58ec6, v15
	v_add_f32_e32 v66, v66, v70
	v_mul_f32_e32 v70, 0x3eedf032, v10
	v_add_f32_e32 v68, v68, v72
	v_mul_f32_e32 v72, 0xbf52af12, v11
	v_add_f32_e32 v67, v67, v71
	v_add_f32_e32 v69, v69, v73
	v_mov_b32_e32 v71, v70
	v_fma_f32 v70, v15, s6, -v70
	v_fma_f32 v73, v14, s7, -v72
	v_fmac_f32_e32 v72, 0x3f116cb1, v14
	v_mul_f32_e32 v11, 0xbf29c268, v11
	v_add_f32_e32 v70, v70, v74
	v_mul_f32_e32 v74, 0xbf52af12, v10
	v_add_f32_e32 v72, v72, v76
	v_fma_f32 v76, v14, s14, -v11
	v_mul_f32_e32 v10, 0xbf29c268, v10
	v_fmac_f32_e32 v11, 0xbf3f9e67, v14
	v_fmac_f32_e32 v71, 0x3f62ad3f, v15
	v_add_f32_e32 v73, v73, v77
	v_mov_b32_e32 v77, v10
	v_add_f32_e32 v3, v11, v3
	v_fma_f32 v10, v15, s14, -v10
	v_add_f32_e32 v11, v7, v39
	v_sub_f32_e32 v7, v39, v7
	v_add_f32_e32 v71, v71, v75
	v_mov_b32_e32 v75, v74
	v_add_f32_e32 v2, v10, v2
	v_add_f32_e32 v10, v6, v38
	v_mul_f32_e32 v14, 0xbf6f5d39, v7
	v_fmac_f32_e32 v75, 0x3f116cb1, v15
	v_fma_f32 v74, v15, s7, -v74
	v_fmac_f32_e32 v77, 0xbf3f9e67, v15
	v_sub_f32_e32 v6, v38, v6
	v_fma_f32 v15, v10, s9, -v14
	v_add_f32_e32 v15, v15, v19
	v_mul_f32_e32 v19, 0xbf6f5d39, v6
	v_fmac_f32_e32 v14, 0xbeb58ec6, v10
	v_mov_b32_e32 v38, v19
	v_add_f32_e32 v14, v14, v18
	v_fma_f32 v18, v11, s9, -v19
	v_mul_f32_e32 v19, 0x3f29c268, v7
	v_add_f32_e32 v18, v18, v42
	v_fma_f32 v39, v10, s14, -v19
	v_mul_f32_e32 v42, 0x3f29c268, v6
	v_fmac_f32_e32 v19, 0xbf3f9e67, v10
	v_fmac_f32_e32 v38, 0xbeb58ec6, v11
	v_add_f32_e32 v39, v39, v46
	v_mov_b32_e32 v46, v42
	v_add_f32_e32 v19, v19, v43
	v_fma_f32 v42, v11, s14, -v42
	v_mul_f32_e32 v43, 0x3eedf032, v7
	v_add_f32_e32 v38, v38, v62
	v_fmac_f32_e32 v46, 0xbf3f9e67, v11
	v_add_f32_e32 v42, v42, v47
	v_fma_f32 v47, v10, s6, -v43
	v_mul_f32_e32 v62, 0x3eedf032, v6
	v_fmac_f32_e32 v43, 0x3f62ad3f, v10
	v_add_f32_e32 v46, v46, v64
	v_mov_b32_e32 v64, v62
	v_add_f32_e32 v43, v43, v63
	v_fma_f32 v62, v11, s6, -v62
	v_mul_f32_e32 v63, 0xbf7e222b, v7
	v_add_f32_e32 v47, v47, v65
	v_fmac_f32_e32 v64, 0x3f62ad3f, v11
	v_add_f32_e32 v62, v62, v66
	v_fma_f32 v65, v10, s8, -v63
	v_mul_f32_e32 v66, 0xbf7e222b, v6
	;; [unrolled: 11-line block ×3, first 2 shown]
	v_mul_f32_e32 v6, 0x3f52af12, v6
	v_add_f32_e32 v67, v67, v71
	v_add_f32_e32 v69, v69, v73
	v_mov_b32_e32 v71, v70
	v_mov_b32_e32 v73, v6
	v_fmac_f32_e32 v71, 0xbf788fa5, v11
	v_fmac_f32_e32 v68, 0xbf788fa5, v10
	v_fma_f32 v70, v11, s15, -v70
	v_mul_f32_e32 v7, 0x3f52af12, v7
	v_fmac_f32_e32 v73, 0x3f116cb1, v11
	v_fma_f32 v6, v11, s7, -v6
	v_sub_f32_e32 v11, v35, v23
	v_add_f32_e32 v68, v68, v72
	v_fma_f32 v72, v10, s7, -v7
	v_fmac_f32_e32 v7, 0x3f116cb1, v10
	v_add_f32_e32 v2, v6, v2
	v_add_f32_e32 v6, v22, v34
	v_sub_f32_e32 v10, v34, v22
	v_mul_f32_e32 v22, 0xbf29c268, v11
	v_add_f32_e32 v3, v7, v3
	v_add_f32_e32 v7, v23, v35
	v_fma_f32 v23, v6, s14, -v22
	v_add_f32_e32 v15, v23, v15
	v_mul_f32_e32 v23, 0xbf29c268, v10
	v_fmac_f32_e32 v22, 0xbf3f9e67, v6
	v_add_f32_e32 v14, v22, v14
	v_fma_f32 v22, v7, s14, -v23
	v_mov_b32_e32 v34, v23
	v_add_f32_e32 v18, v22, v18
	v_mul_f32_e32 v22, 0x3f7e222b, v11
	v_fmac_f32_e32 v34, 0xbf3f9e67, v7
	v_fma_f32 v23, v6, s8, -v22
	v_mul_f32_e32 v35, 0x3f7e222b, v10
	v_fmac_f32_e32 v22, 0x3df6dbef, v6
	v_add_f32_e32 v34, v34, v38
	v_mov_b32_e32 v38, v35
	v_add_f32_e32 v19, v22, v19
	v_fma_f32 v22, v7, s8, -v35
	v_add_f32_e32 v78, v78, v82
	v_fmac_f32_e32 v38, 0x3df6dbef, v7
	v_add_f32_e32 v22, v22, v42
	v_mul_f32_e32 v42, 0xbf52af12, v10
	v_add_f32_e32 v74, v74, v78
	v_add_f32_e32 v38, v38, v46
	v_mul_f32_e32 v35, 0xbf52af12, v11
	v_mov_b32_e32 v46, v42
	v_fma_f32 v42, v7, s7, -v42
	v_add_f32_e32 v70, v70, v74
	v_add_f32_e32 v23, v23, v39
	v_fma_f32 v39, v6, s7, -v35
	v_fmac_f32_e32 v35, 0x3f116cb1, v6
	v_add_f32_e32 v74, v42, v62
	v_mul_f32_e32 v42, 0x3e750f2a, v11
	v_add_f32_e32 v79, v79, v83
	v_add_f32_e32 v35, v35, v43
	v_fma_f32 v43, v6, s15, -v42
	v_add_f32_e32 v75, v75, v79
	v_add_f32_e32 v65, v43, v65
	v_mul_f32_e32 v43, 0x3e750f2a, v10
	v_fmac_f32_e32 v42, 0xbf788fa5, v6
	v_add_f32_e32 v71, v71, v75
	v_add_f32_e32 v75, v42, v63
	v_fma_f32 v42, v7, s15, -v43
	v_fmac_f32_e32 v46, 0x3f116cb1, v7
	v_add_f32_e32 v66, v42, v66
	v_mul_f32_e32 v42, 0x3eedf032, v11
	v_add_f32_e32 v64, v46, v64
	v_mov_b32_e32 v46, v43
	v_fma_f32 v43, v6, s6, -v42
	v_add_f32_e32 v69, v43, v69
	v_mul_f32_e32 v43, 0x3eedf032, v10
	v_fmac_f32_e32 v42, 0x3f62ad3f, v6
	v_add_f32_e32 v80, v80, v84
	v_add_f32_e32 v68, v42, v68
	v_fma_f32 v42, v7, s6, -v43
	v_mul_f32_e32 v11, 0xbf6f5d39, v11
	v_add_f32_e32 v81, v81, v85
	v_add_f32_e32 v76, v76, v80
	;; [unrolled: 1-line block ×3, first 2 shown]
	v_fma_f32 v42, v6, s9, -v11
	v_mul_f32_e32 v10, 0xbf6f5d39, v10
	v_fmac_f32_e32 v11, 0xbeb58ec6, v6
	v_add_f32_e32 v77, v77, v81
	v_add_f32_e32 v72, v72, v76
	;; [unrolled: 1-line block ×3, first 2 shown]
	v_fma_f32 v3, v7, s9, -v10
	v_add_f32_e32 v79, v27, v31
	v_sub_f32_e32 v27, v31, v27
	v_add_f32_e32 v73, v73, v77
	v_add_f32_e32 v72, v42, v72
	v_mov_b32_e32 v42, v10
	v_add_f32_e32 v77, v3, v2
	v_add_f32_e32 v78, v26, v30
	v_mul_f32_e32 v2, 0xbe750f2a, v27
	v_fmac_f32_e32 v42, 0xbeb58ec6, v7
	v_sub_f32_e32 v26, v30, v26
	v_fma_f32 v3, v78, s15, -v2
	v_add_f32_e32 v73, v42, v73
	v_add_f32_e32 v42, v3, v15
	v_mul_f32_e32 v3, 0xbe750f2a, v26
	v_mov_b32_e32 v6, v3
	v_fmac_f32_e32 v46, 0xbf788fa5, v7
	v_fmac_f32_e32 v6, 0xbf788fa5, v79
	v_add_f32_e32 v67, v46, v67
	v_mov_b32_e32 v46, v43
	v_add_f32_e32 v43, v6, v34
	v_mul_f32_e32 v6, 0x3eedf032, v27
	v_fmac_f32_e32 v46, 0x3f62ad3f, v7
	v_fma_f32 v7, v78, s6, -v6
	v_add_f32_e32 v71, v46, v71
	v_add_f32_e32 v46, v7, v23
	v_mul_f32_e32 v7, 0x3eedf032, v26
	v_mov_b32_e32 v10, v7
	v_fmac_f32_e32 v10, 0x3f62ad3f, v79
	v_add_f32_e32 v39, v39, v47
	v_add_f32_e32 v47, v10, v38
	v_mul_f32_e32 v10, 0xbf29c268, v27
	v_fma_f32 v11, v78, s14, -v10
	v_fmac_f32_e32 v2, 0xbf788fa5, v78
	v_add_f32_e32 v62, v11, v39
	v_mul_f32_e32 v11, 0xbf29c268, v26
	v_add_f32_e32 v2, v2, v14
	v_mov_b32_e32 v14, v11
	v_fmac_f32_e32 v14, 0xbf3f9e67, v79
	v_add_f32_e32 v63, v14, v64
	v_mul_f32_e32 v14, 0x3f52af12, v27
	v_fma_f32 v15, v78, s7, -v14
	v_fma_f32 v3, v79, s15, -v3
	v_add_f32_e32 v30, v15, v65
	v_mul_f32_e32 v15, 0x3f52af12, v26
	v_add_f32_e32 v3, v3, v18
	v_mov_b32_e32 v18, v15
	v_fmac_f32_e32 v18, 0x3f116cb1, v79
	v_fmac_f32_e32 v6, 0x3f62ad3f, v78
	v_add_f32_e32 v31, v18, v67
	v_mul_f32_e32 v18, 0xbf6f5d39, v27
	v_add_f32_e32 v6, v6, v19
	v_fma_f32 v19, v78, s9, -v18
	v_fma_f32 v7, v79, s6, -v7
	v_add_f32_e32 v34, v19, v69
	v_mul_f32_e32 v19, 0xbf6f5d39, v26
	v_add_f32_e32 v7, v7, v22
	v_mov_b32_e32 v22, v19
	v_fmac_f32_e32 v10, 0xbf3f9e67, v78
	v_fmac_f32_e32 v22, 0xbeb58ec6, v79
	v_mul_f32_e32 v27, 0x3f7e222b, v27
	v_mul_f32_e32 v38, 0x3f7e222b, v26
	v_add_f32_e32 v10, v10, v35
	v_add_f32_e32 v35, v22, v71
	v_fma_f32 v22, v78, s8, -v27
	v_mov_b32_e32 v23, v38
	v_fmac_f32_e32 v27, 0x3df6dbef, v78
	s_movk_i32 s0, 0x68
	v_fma_f32 v11, v79, s14, -v11
	v_fmac_f32_e32 v14, 0x3f116cb1, v78
	v_fma_f32 v15, v79, s7, -v15
	v_fmac_f32_e32 v18, 0xbeb58ec6, v78
	;; [unrolled: 2-line block ×3, first 2 shown]
	v_add_f32_e32 v26, v27, v76
	v_fma_f32 v27, v79, s8, -v38
	v_mad_u32_u24 v38, v50, s0, v57
	v_cmp_gt_u32_e64 s[0:1], 8, v50
	v_add_f32_e32 v11, v11, v74
	v_add_f32_e32 v14, v14, v75
	;; [unrolled: 1-line block ×8, first 2 shown]
	s_waitcnt lgkmcnt(0)
	; wave barrier
	s_waitcnt lgkmcnt(0)
	ds_write2_b64 v38, v[55:56], v[42:43] offset1:1
	ds_write2_b64 v38, v[46:47], v[62:63] offset0:2 offset1:3
	ds_write2_b64 v38, v[30:31], v[34:35] offset0:4 offset1:5
	;; [unrolled: 1-line block ×5, first 2 shown]
	ds_write_b64 v38, v[2:3] offset:96
	s_and_saveexec_b64 s[4:5], s[0:1]
	s_cbranch_execz .LBB0_15
; %bb.14:
	v_sub_f32_e32 v39, v44, v53
	v_mul_f32_e32 v42, 0xbe750f2a, v39
	v_sub_f32_e32 v43, v40, v16
	v_add_f32_e32 v10, v54, v45
	v_mov_b32_e32 v2, v42
	v_mul_f32_e32 v46, 0x3eedf032, v43
	v_fmac_f32_e32 v2, 0xbf788fa5, v10
	v_add_f32_e32 v11, v17, v41
	v_mov_b32_e32 v3, v46
	v_sub_f32_e32 v47, v36, v12
	v_add_f32_e32 v2, v1, v2
	v_fmac_f32_e32 v3, 0x3f62ad3f, v11
	v_mul_f32_e32 v55, 0xbf29c268, v47
	v_add_f32_e32 v2, v3, v2
	v_add_f32_e32 v14, v13, v37
	v_mov_b32_e32 v3, v55
	v_sub_f32_e32 v56, v32, v8
	v_fmac_f32_e32 v3, 0xbf3f9e67, v14
	v_mul_f32_e32 v62, 0x3f52af12, v56
	v_add_f32_e32 v2, v3, v2
	v_add_f32_e32 v15, v9, v33
	v_mov_b32_e32 v3, v62
	v_sub_f32_e32 v63, v28, v4
	;; [unrolled: 6-line block ×4, first 2 shown]
	v_fmac_f32_e32 v3, 0x3df6dbef, v19
	v_add_f32_e32 v22, v53, v44
	v_mul_f32_e32 v68, 0xbe750f2a, v67
	v_sub_f32_e32 v69, v41, v17
	v_add_f32_e32 v3, v3, v2
	v_fma_f32 v2, v22, s15, -v68
	v_add_f32_e32 v23, v16, v40
	v_mul_f32_e32 v70, 0x3eedf032, v69
	v_sub_f32_e32 v71, v37, v13
	v_add_f32_e32 v2, v0, v2
	v_fma_f32 v6, v23, s6, -v70
	;; [unrolled: 5-line block ×5, first 2 shown]
	v_add_f32_e32 v31, v20, v24
	v_mul_f32_e32 v78, 0x3f7e222b, v77
	v_add_f32_e32 v2, v6, v2
	v_fma_f32 v6, v31, s8, -v78
	v_mul_f32_e32 v79, 0xbf29c268, v39
	v_add_f32_e32 v2, v6, v2
	v_mov_b32_e32 v6, v79
	v_mul_f32_e32 v80, 0x3f7e222b, v43
	v_fmac_f32_e32 v6, 0xbf3f9e67, v10
	v_mov_b32_e32 v7, v80
	v_add_f32_e32 v6, v1, v6
	v_fmac_f32_e32 v7, 0x3df6dbef, v11
	v_mul_f32_e32 v81, 0xbf52af12, v47
	v_add_f32_e32 v6, v7, v6
	v_mov_b32_e32 v7, v81
	v_fmac_f32_e32 v7, 0x3f116cb1, v14
	v_mul_f32_e32 v82, 0x3e750f2a, v56
	v_add_f32_e32 v6, v7, v6
	v_mov_b32_e32 v7, v82
	v_fmac_f32_e32 v7, 0xbf788fa5, v15
	v_mul_f32_e32 v83, 0x3eedf032, v63
	v_add_f32_e32 v6, v7, v6
	v_mov_b32_e32 v7, v83
	v_fmac_f32_e32 v7, 0x3f62ad3f, v18
	v_mul_f32_e32 v84, 0xbf6f5d39, v65
	v_add_f32_e32 v6, v7, v6
	v_mov_b32_e32 v7, v84
	v_fmac_f32_e32 v7, 0xbeb58ec6, v19
	v_mul_f32_e32 v85, 0xbf29c268, v67
	v_add_f32_e32 v7, v7, v6
	v_fma_f32 v6, v22, s14, -v85
	v_mul_f32_e32 v86, 0x3f7e222b, v69
	v_add_f32_e32 v6, v0, v6
	v_fma_f32 v34, v23, s8, -v86
	;; [unrolled: 3-line block ×6, first 2 shown]
	v_mul_f32_e32 v91, 0xbf6f5d39, v39
	v_add_f32_e32 v6, v34, v6
	v_mov_b32_e32 v34, v91
	v_mul_f32_e32 v92, 0x3f29c268, v43
	v_fmac_f32_e32 v34, 0xbeb58ec6, v10
	v_mov_b32_e32 v35, v92
	v_add_f32_e32 v34, v1, v34
	v_fmac_f32_e32 v35, 0xbf3f9e67, v11
	v_mul_f32_e32 v93, 0x3eedf032, v47
	v_add_f32_e32 v34, v35, v34
	v_mov_b32_e32 v35, v93
	v_fmac_f32_e32 v35, 0x3f62ad3f, v14
	v_mul_f32_e32 v94, 0xbf7e222b, v56
	v_add_f32_e32 v34, v35, v34
	v_mov_b32_e32 v35, v94
	;; [unrolled: 4-line block ×4, first 2 shown]
	v_fmac_f32_e32 v35, 0x3f116cb1, v19
	v_mul_f32_e32 v97, 0xbf6f5d39, v67
	v_add_f32_e32 v35, v35, v34
	v_fma_f32 v34, v22, s9, -v97
	v_mul_f32_e32 v98, 0x3f29c268, v69
	v_add_f32_e32 v34, v0, v34
	v_fma_f32 v38, v23, s14, -v98
	;; [unrolled: 3-line block ×6, first 2 shown]
	v_mul_f32_e32 v103, 0xbf7e222b, v39
	v_add_f32_e32 v34, v38, v34
	v_mov_b32_e32 v38, v103
	v_mul_f32_e32 v104, 0xbe750f2a, v43
	v_fmac_f32_e32 v38, 0x3df6dbef, v10
	v_mov_b32_e32 v105, v104
	v_add_f32_e32 v38, v1, v38
	v_fmac_f32_e32 v105, 0xbf788fa5, v11
	v_add_f32_e32 v38, v105, v38
	v_mul_f32_e32 v105, 0x3f6f5d39, v47
	v_mov_b32_e32 v106, v105
	v_fmac_f32_e32 v106, 0xbeb58ec6, v14
	v_add_f32_e32 v38, v106, v38
	v_mul_f32_e32 v106, 0x3eedf032, v56
	v_mov_b32_e32 v107, v106
	v_fmac_f32_e32 v107, 0x3f62ad3f, v15
	v_add_f32_e32 v45, v1, v45
	v_add_f32_e32 v44, v0, v44
	v_mul_f32_e32 v109, 0xbf7e222b, v67
	v_add_f32_e32 v38, v107, v38
	v_mul_f32_e32 v107, 0xbf52af12, v63
	v_add_f32_e32 v41, v45, v41
	v_add_f32_e32 v40, v44, v40
	v_fma_f32 v44, v22, s8, -v109
	v_mul_f32_e32 v45, 0xbe750f2a, v69
	v_mov_b32_e32 v108, v107
	v_add_f32_e32 v44, v0, v44
	v_fma_f32 v110, v23, s15, -v45
	v_fmac_f32_e32 v108, 0x3f116cb1, v18
	v_add_f32_e32 v44, v110, v44
	v_mul_f32_e32 v110, 0x3f6f5d39, v71
	v_add_f32_e32 v38, v108, v38
	v_mul_f32_e32 v108, 0xbf29c268, v65
	v_fma_f32 v111, v26, s9, -v110
	v_add_f32_e32 v36, v40, v36
	v_mul_f32_e32 v40, 0x3eedf032, v73
	v_add_f32_e32 v44, v111, v44
	v_mov_b32_e32 v111, v108
	v_add_f32_e32 v41, v41, v37
	v_fma_f32 v37, v27, s6, -v40
	v_fmac_f32_e32 v111, 0xbf3f9e67, v19
	v_add_f32_e32 v37, v37, v44
	v_mul_f32_e32 v44, 0xbf52af12, v75
	v_add_f32_e32 v38, v111, v38
	v_fma_f32 v111, v30, s7, -v44
	v_add_f32_e32 v37, v111, v37
	v_mul_f32_e32 v111, 0xbf29c268, v77
	v_fma_f32 v112, v31, s14, -v111
	v_add_f32_e32 v37, v112, v37
	v_mul_f32_e32 v112, 0xbf52af12, v39
	v_mov_b32_e32 v113, v112
	v_add_f32_e32 v32, v36, v32
	v_mul_f32_e32 v36, 0xbf6f5d39, v43
	v_fmac_f32_e32 v113, 0x3f116cb1, v10
	v_add_f32_e32 v33, v41, v33
	v_mov_b32_e32 v41, v36
	v_add_f32_e32 v113, v1, v113
	v_fmac_f32_e32 v41, 0xbeb58ec6, v11
	v_add_f32_e32 v41, v41, v113
	v_mul_f32_e32 v113, 0xbe750f2a, v47
	v_mov_b32_e32 v114, v113
	v_fmac_f32_e32 v114, 0xbf788fa5, v14
	v_add_f32_e32 v41, v114, v41
	v_mul_f32_e32 v114, 0x3f29c268, v56
	v_mov_b32_e32 v115, v114
	v_add_f32_e32 v28, v32, v28
	v_fmac_f32_e32 v115, 0xbf3f9e67, v15
	v_add_f32_e32 v29, v33, v29
	v_add_f32_e32 v28, v28, v24
	v_mul_f32_e32 v39, 0xbeedf032, v39
	v_add_f32_e32 v41, v115, v41
	v_mul_f32_e32 v115, 0x3f7e222b, v63
	v_add_f32_e32 v29, v29, v25
	v_add_f32_e32 v28, v28, v20
	v_mov_b32_e32 v20, v39
	v_mul_f32_e32 v43, 0xbf52af12, v43
	v_mov_b32_e32 v116, v115
	v_add_f32_e32 v29, v29, v21
	v_fmac_f32_e32 v20, 0x3f62ad3f, v10
	v_mov_b32_e32 v21, v43
	v_fmac_f32_e32 v116, 0x3df6dbef, v18
	v_mul_f32_e32 v32, 0xbf52af12, v67
	v_add_f32_e32 v20, v1, v20
	v_fmac_f32_e32 v21, 0x3f116cb1, v11
	v_mul_f32_e32 v47, 0xbf7e222b, v47
	v_add_f32_e32 v41, v116, v41
	v_fma_f32 v33, v22, s7, -v32
	v_mul_f32_e32 v116, 0xbf6f5d39, v69
	v_add_f32_e32 v20, v21, v20
	v_mov_b32_e32 v21, v47
	v_add_f32_e32 v33, v0, v33
	v_fma_f32 v117, v23, s9, -v116
	v_mul_f32_e32 v118, 0xbe750f2a, v71
	v_fmac_f32_e32 v21, 0x3df6dbef, v14
	v_mul_f32_e32 v56, 0xbf6f5d39, v56
	v_add_f32_e32 v33, v117, v33
	v_fma_f32 v24, v26, s15, -v118
	v_mul_f32_e32 v119, 0x3f29c268, v73
	v_add_f32_e32 v20, v21, v20
	v_mov_b32_e32 v21, v56
	v_add_f32_e32 v24, v24, v33
	v_fma_f32 v25, v27, s14, -v119
	v_mul_f32_e32 v120, 0x3f7e222b, v75
	v_fmac_f32_e32 v21, 0xbeb58ec6, v15
	v_mul_f32_e32 v63, 0xbf29c268, v63
	v_mul_f32_e32 v117, 0x3eedf032, v65
	v_add_f32_e32 v24, v25, v24
	v_fma_f32 v25, v30, s8, -v120
	v_add_f32_e32 v20, v21, v20
	v_mov_b32_e32 v21, v63
	v_add_f32_e32 v24, v25, v24
	v_mov_b32_e32 v25, v117
	v_fmac_f32_e32 v21, 0xbf3f9e67, v18
	v_mul_f32_e32 v65, 0xbe750f2a, v65
	v_fmac_f32_e32 v25, 0x3f62ad3f, v19
	v_add_f32_e32 v20, v21, v20
	v_mov_b32_e32 v21, v65
	v_add_f32_e32 v25, v25, v41
	v_mul_f32_e32 v41, 0x3eedf032, v77
	v_fmac_f32_e32 v21, 0xbf788fa5, v19
	v_mul_f32_e32 v67, 0xbeedf032, v67
	v_fma_f32 v33, v31, s6, -v41
	v_add_f32_e32 v21, v21, v20
	v_fma_f32 v20, v22, s6, -v67
	v_mul_f32_e32 v69, 0xbf52af12, v69
	v_add_f32_e32 v4, v28, v4
	v_add_f32_e32 v24, v33, v24
	v_add_f32_e32 v20, v0, v20
	v_fma_f32 v33, v23, s7, -v69
	v_mul_f32_e32 v71, 0xbf7e222b, v71
	v_add_f32_e32 v5, v29, v5
	v_add_f32_e32 v4, v4, v8
	;; [unrolled: 5-line block ×4, first 2 shown]
	v_fma_f32 v8, v10, s15, -v42
	v_fma_f32 v12, v10, s14, -v79
	;; [unrolled: 1-line block ×4, first 2 shown]
	v_add_f32_e32 v20, v33, v20
	v_fma_f32 v33, v30, s14, -v75
	v_mul_f32_e32 v77, 0xbe750f2a, v77
	v_add_f32_e32 v5, v5, v17
	v_add_f32_e32 v8, v1, v8
	v_fma_f32 v9, v11, s6, -v46
	v_add_f32_e32 v12, v1, v12
	v_fma_f32 v13, v11, s8, -v80
	;; [unrolled: 2-line block ×9, first 2 shown]
	v_add_f32_e32 v20, v33, v20
	v_add_f32_e32 v8, v9, v8
	v_fma_f32 v9, v15, s7, -v62
	v_add_f32_e32 v12, v13, v12
	v_fma_f32 v13, v15, s15, -v82
	;; [unrolled: 2-line block ×4, first 2 shown]
	v_fma_f32 v33, v10, s7, -v112
	v_fma_f32 v10, v10, s6, -v39
	v_add_f32_e32 v8, v9, v8
	v_fma_f32 v9, v18, s9, -v64
	v_add_f32_e32 v12, v13, v12
	v_fma_f32 v13, v18, s6, -v83
	v_add_f32_e32 v16, v17, v16
	v_fma_f32 v17, v18, s15, -v95
	v_add_f32_e32 v28, v29, v28
	v_fma_f32 v29, v18, s7, -v107
	v_add_f32_e32 v33, v1, v33
	v_add_f32_e32 v1, v1, v10
	v_fma_f32 v10, v11, s7, -v43
	v_add_f32_e32 v8, v9, v8
	v_fma_f32 v9, v19, s8, -v66
	v_fmac_f32_e32 v68, 0xbf788fa5, v22
	v_add_f32_e32 v12, v13, v12
	v_fma_f32 v13, v19, s9, -v84
	v_fmac_f32_e32 v85, 0xbf3f9e67, v22
	;; [unrolled: 3-line block ×4, first 2 shown]
	v_fmac_f32_e32 v32, 0x3f116cb1, v22
	v_add_f32_e32 v1, v10, v1
	v_fma_f32 v10, v14, s8, -v47
	v_fmac_f32_e32 v67, 0x3f62ad3f, v22
	v_add_f32_e32 v9, v9, v8
	v_add_f32_e32 v8, v0, v68
	v_fmac_f32_e32 v70, 0x3f62ad3f, v23
	v_add_f32_e32 v13, v13, v12
	v_add_f32_e32 v12, v0, v85
	;; [unrolled: 3-line block ×4, first 2 shown]
	v_fmac_f32_e32 v45, 0xbf788fa5, v23
	v_fma_f32 v36, v11, s9, -v36
	v_add_f32_e32 v32, v0, v32
	v_fmac_f32_e32 v116, 0xbeb58ec6, v23
	v_add_f32_e32 v1, v10, v1
	v_fma_f32 v10, v15, s9, -v56
	v_add_f32_e32 v0, v0, v67
	v_fmac_f32_e32 v69, 0x3f116cb1, v23
	v_add_f32_e32 v8, v70, v8
	v_fmac_f32_e32 v72, 0xbf3f9e67, v26
	v_add_f32_e32 v12, v86, v12
	v_fmac_f32_e32 v87, 0x3f116cb1, v26
	v_add_f32_e32 v16, v98, v16
	v_fmac_f32_e32 v99, 0x3f62ad3f, v26
	v_add_f32_e32 v28, v45, v28
	v_fmac_f32_e32 v110, 0xbeb58ec6, v26
	v_add_f32_e32 v33, v36, v33
	v_fma_f32 v36, v14, s15, -v113
	v_add_f32_e32 v32, v116, v32
	v_fmac_f32_e32 v118, 0xbf788fa5, v26
	v_add_f32_e32 v1, v10, v1
	v_fma_f32 v10, v18, s14, -v63
	v_add_f32_e32 v0, v69, v0
	v_fmac_f32_e32 v71, 0x3df6dbef, v26
	v_add_f32_e32 v8, v72, v8
	v_fmac_f32_e32 v74, 0x3f116cb1, v27
	v_add_f32_e32 v12, v87, v12
	v_fmac_f32_e32 v88, 0xbf788fa5, v27
	v_add_f32_e32 v16, v99, v16
	v_fmac_f32_e32 v100, 0x3df6dbef, v27
	v_add_f32_e32 v28, v110, v28
	v_fmac_f32_e32 v40, 0x3f62ad3f, v27
	v_add_f32_e32 v33, v36, v33
	;; [unrolled: 16-line block ×3, first 2 shown]
	v_fma_f32 v36, v18, s8, -v115
	v_add_f32_e32 v32, v119, v32
	v_fmac_f32_e32 v120, 0x3df6dbef, v30
	v_add_f32_e32 v1, v10, v1
	v_add_f32_e32 v0, v73, v0
	v_fmac_f32_e32 v75, 0xbf3f9e67, v30
	v_mul_i32_i24_e32 v10, 0x68, v59
	v_add_f32_e32 v5, v5, v54
	v_add_f32_e32 v4, v4, v53
	;; [unrolled: 1-line block ×3, first 2 shown]
	v_fmac_f32_e32 v78, 0x3df6dbef, v31
	v_add_f32_e32 v12, v89, v12
	v_fmac_f32_e32 v90, 0xbeb58ec6, v31
	v_add_f32_e32 v16, v101, v16
	;; [unrolled: 2-line block ×4, first 2 shown]
	v_fma_f32 v36, v19, s6, -v117
	v_add_f32_e32 v32, v120, v32
	v_fmac_f32_e32 v41, 0x3f62ad3f, v31
	v_add_f32_e32 v0, v75, v0
	v_fmac_f32_e32 v77, 0xbf788fa5, v31
	v_add3_u32 v10, 0, v10, v61
	v_add_f32_e32 v8, v78, v8
	v_add_f32_e32 v12, v90, v12
	;; [unrolled: 1-line block ×7, first 2 shown]
	ds_write2_b64 v10, v[4:5], v[20:21] offset1:1
	ds_write2_b64 v10, v[24:25], v[37:38] offset0:2 offset1:3
	ds_write2_b64 v10, v[34:35], v[6:7] offset0:4 offset1:5
	;; [unrolled: 1-line block ×5, first 2 shown]
	ds_write_b64 v10, v[0:1] offset:96
.LBB0_15:
	s_or_b64 exec, exec, s[4:5]
	v_lshlrev_b32_e32 v0, 1, v50
	v_mov_b32_e32 v1, 0
	v_lshlrev_b64 v[2:3], 3, v[0:1]
	v_mov_b32_e32 v47, s13
	v_add_co_u32_e64 v2, s[0:1], s12, v2
	v_addc_co_u32_e64 v3, s[0:1], v47, v3, s[0:1]
	v_add_u16_e32 v0, 26, v50
	s_movk_i32 s0, 0x4f
	s_waitcnt lgkmcnt(0)
	; wave barrier
	s_waitcnt lgkmcnt(0)
	global_load_dwordx4 v[3:6], v[2:3], off
	v_mul_lo_u16_sdwa v2, v0, s0 dst_sel:DWORD dst_unused:UNUSED_PAD src0_sel:BYTE_0 src1_sel:DWORD
	v_add_u16_e32 v11, 39, v50
	v_lshrrev_b16_e32 v2, 10, v2
	v_mul_lo_u16_sdwa v12, v11, s0 dst_sel:DWORD dst_unused:UNUSED_PAD src0_sel:BYTE_0 src1_sel:DWORD
	v_add_u16_e32 v15, 52, v50
	v_mul_lo_u16_e32 v2, 13, v2
	v_lshrrev_b16_e32 v12, 10, v12
	v_mul_lo_u16_sdwa v16, v15, s0 dst_sel:DWORD dst_unused:UNUSED_PAD src0_sel:BYTE_0 src1_sel:DWORD
	v_sub_u16_e32 v0, v0, v2
	v_mov_b32_e32 v2, 4
	v_mul_lo_u16_e32 v12, 13, v12
	v_lshrrev_b16_e32 v16, 10, v16
	v_add_u16_e32 v19, 0x41, v50
	v_lshlrev_b32_sdwa v7, v2, v0 dst_sel:DWORD dst_unused:UNUSED_PAD src0_sel:DWORD src1_sel:BYTE_0
	v_sub_u16_e32 v80, v11, v12
	v_mul_lo_u16_e32 v16, 13, v16
	v_mul_lo_u16_sdwa v20, v19, s0 dst_sel:DWORD dst_unused:UNUSED_PAD src0_sel:BYTE_0 src1_sel:DWORD
	global_load_dwordx4 v[7:10], v7, s[12:13]
	v_lshlrev_b32_sdwa v11, v2, v80 dst_sel:DWORD dst_unused:UNUSED_PAD src0_sel:DWORD src1_sel:BYTE_0
	v_sub_u16_e32 v81, v15, v16
	v_lshrrev_b16_e32 v20, 10, v20
	v_add_u16_e32 v23, 0x4e, v50
	global_load_dwordx4 v[11:14], v11, s[12:13]
	v_lshlrev_b32_sdwa v15, v2, v81 dst_sel:DWORD dst_unused:UNUSED_PAD src0_sel:DWORD src1_sel:BYTE_0
	global_load_dwordx4 v[15:18], v15, s[12:13]
	v_mul_lo_u16_e32 v20, 13, v20
	v_mul_lo_u16_sdwa v24, v23, s0 dst_sel:DWORD dst_unused:UNUSED_PAD src0_sel:BYTE_0 src1_sel:DWORD
	v_sub_u16_e32 v82, v19, v20
	v_lshrrev_b16_e32 v24, 10, v24
	v_lshlrev_b32_sdwa v19, v2, v82 dst_sel:DWORD dst_unused:UNUSED_PAD src0_sel:DWORD src1_sel:BYTE_0
	v_mul_lo_u16_e32 v24, 13, v24
	global_load_dwordx4 v[19:22], v19, s[12:13]
	v_sub_u16_e32 v83, v23, v24
	v_lshlrev_b32_sdwa v2, v2, v83 dst_sel:DWORD dst_unused:UNUSED_PAD src0_sel:DWORD src1_sel:BYTE_0
	global_load_dwordx4 v[23:26], v2, s[12:13]
	ds_read_b64 v[74:75], v60
	ds_read2_b64 v[27:30], v58 offset0:78 offset1:91
	ds_read2_b64 v[31:34], v58 offset0:182 offset1:195
	;; [unrolled: 1-line block ×9, first 2 shown]
	v_lshlrev_b32_e32 v2, 3, v59
	v_add3_u32 v2, 0, v2, v61
	ds_read_b64 v[76:77], v2
	ds_read_b64 v[78:79], v58 offset:2080
	s_waitcnt lgkmcnt(0)
	; wave barrier
	s_waitcnt lgkmcnt(0)
	s_mov_b32 s4, 0xbf3bfb3b
	s_mov_b32 s5, 0xbeae86e6
	s_waitcnt vmcnt(5)
	v_mul_f32_e32 v84, v4, v30
	v_mul_f32_e32 v85, v4, v29
	;; [unrolled: 1-line block ×8, first 2 shown]
	v_fma_f32 v6, v3, v29, -v84
	v_fmac_f32_e32 v85, v3, v30
	v_fma_f32 v30, v35, v3, -v88
	v_fmac_f32_e32 v89, v36, v3
	v_fmac_f32_e32 v87, v32, v5
	;; [unrolled: 1-line block ×3, first 2 shown]
	v_fma_f32 v29, v31, v5, -v86
	v_fma_f32 v31, v33, v5, -v4
	s_waitcnt vmcnt(4)
	v_mul_f32_e32 v3, v38, v8
	v_mul_f32_e32 v32, v37, v8
	v_fma_f32 v34, v37, v7, -v3
	v_mul_f32_e32 v4, v44, v10
	v_mul_f32_e32 v33, v43, v10
	s_waitcnt vmcnt(3)
	v_mul_f32_e32 v3, v46, v14
	v_fmac_f32_e32 v32, v38, v7
	v_fma_f32 v38, v45, v13, -v3
	s_waitcnt vmcnt(2)
	v_mul_f32_e32 v3, v56, v16
	v_fma_f32 v35, v43, v9, -v4
	v_fmac_f32_e32 v33, v44, v9
	v_mul_f32_e32 v43, v45, v14
	v_fma_f32 v44, v55, v15, -v3
	v_mul_f32_e32 v3, v67, v18
	v_mul_f32_e32 v37, v53, v12
	v_fmac_f32_e32 v43, v46, v13
	v_fma_f32 v46, v66, v17, -v3
	s_waitcnt vmcnt(1)
	v_mul_f32_e32 v3, v71, v20
	v_mul_f32_e32 v5, v54, v12
	v_fmac_f32_e32 v37, v54, v11
	v_mul_f32_e32 v45, v55, v16
	v_fma_f32 v54, v70, v19, -v3
	v_mul_f32_e32 v3, v69, v22
	v_fma_f32 v36, v53, v11, -v5
	v_fmac_f32_e32 v45, v56, v15
	v_mul_f32_e32 v53, v66, v18
	v_fma_f32 v56, v68, v21, -v3
	s_waitcnt vmcnt(0)
	v_mul_f32_e32 v3, v73, v24
	v_fmac_f32_e32 v53, v67, v17
	v_mul_f32_e32 v66, v68, v22
	v_fma_f32 v67, v72, v23, -v3
	v_mul_f32_e32 v3, v79, v26
	v_add_f32_e32 v4, v6, v29
	v_fmac_f32_e32 v66, v69, v21
	v_fma_f32 v69, v78, v25, -v3
	v_add_f32_e32 v3, v74, v6
	v_fma_f32 v74, -0.5, v4, v74
	v_sub_f32_e32 v4, v85, v87
	v_mov_b32_e32 v5, v74
	v_add_f32_e32 v7, v85, v87
	v_fmac_f32_e32 v5, 0x3f5db3d7, v4
	v_fmac_f32_e32 v74, 0xbf5db3d7, v4
	v_add_f32_e32 v4, v75, v85
	v_fmac_f32_e32 v75, -0.5, v7
	v_sub_f32_e32 v7, v6, v29
	v_mov_b32_e32 v6, v75
	v_add_f32_e32 v8, v30, v31
	v_fmac_f32_e32 v6, 0xbf5db3d7, v7
	v_fmac_f32_e32 v75, 0x3f5db3d7, v7
	v_add_f32_e32 v7, v76, v30
	v_fma_f32 v76, -0.5, v8, v76
	v_sub_f32_e32 v8, v89, v90
	v_mov_b32_e32 v9, v76
	v_add_f32_e32 v10, v89, v90
	v_add_f32_e32 v14, v32, v33
	v_fmac_f32_e32 v9, 0x3f5db3d7, v8
	v_fmac_f32_e32 v76, 0xbf5db3d7, v8
	v_add_f32_e32 v8, v77, v89
	v_fmac_f32_e32 v77, -0.5, v10
	v_add_f32_e32 v12, v34, v35
	v_fma_f32 v14, -0.5, v14, v40
	v_mul_f32_e32 v68, v72, v24
	v_add_f32_e32 v3, v3, v29
	v_add_f32_e32 v4, v4, v87
	v_sub_f32_e32 v11, v30, v31
	v_mov_b32_e32 v10, v77
	v_fma_f32 v13, -0.5, v12, v39
	v_sub_f32_e32 v17, v34, v35
	v_mov_b32_e32 v16, v14
	v_add_f32_e32 v18, v36, v38
	v_add_f32_e32 v24, v45, v53
	v_mul_f32_e32 v55, v70, v20
	v_add_f32_e32 v7, v7, v31
	v_add_f32_e32 v8, v8, v90
	v_fmac_f32_e32 v10, 0xbf5db3d7, v11
	v_fmac_f32_e32 v77, 0x3f5db3d7, v11
	v_sub_f32_e32 v12, v32, v33
	v_mov_b32_e32 v15, v13
	v_fmac_f32_e32 v16, 0xbf5db3d7, v17
	v_fmac_f32_e32 v14, 0x3f5db3d7, v17
	v_add_f32_e32 v17, v41, v36
	v_fma_f32 v41, -0.5, v18, v41
	v_fma_f32 v24, -0.5, v24, v63
	ds_write2_b64 v58, v[3:4], v[5:6] offset1:13
	ds_write2_b64 v58, v[74:75], v[7:8] offset0:26 offset1:39
	ds_write2_b64 v58, v[9:10], v[76:77] offset0:52 offset1:65
	v_mov_b32_e32 v3, 3
	v_fmac_f32_e32 v55, v71, v19
	v_mul_f32_e32 v70, v78, v26
	v_add_f32_e32 v11, v39, v34
	v_fmac_f32_e32 v15, 0x3f5db3d7, v12
	v_fmac_f32_e32 v13, 0xbf5db3d7, v12
	v_add_f32_e32 v12, v40, v32
	v_sub_f32_e32 v18, v37, v43
	v_mov_b32_e32 v19, v41
	v_add_f32_e32 v20, v37, v43
	v_sub_f32_e32 v29, v44, v46
	v_mov_b32_e32 v26, v24
	v_add_f32_e32 v30, v54, v56
	v_lshlrev_b32_sdwa v0, v3, v0 dst_sel:DWORD dst_unused:UNUSED_PAD src0_sel:DWORD src1_sel:BYTE_0
	v_add_f32_e32 v11, v11, v35
	v_add_f32_e32 v12, v12, v33
	v_fmac_f32_e32 v19, 0x3f5db3d7, v18
	v_fmac_f32_e32 v41, 0xbf5db3d7, v18
	v_add_f32_e32 v18, v42, v37
	v_fmac_f32_e32 v42, -0.5, v20
	v_add_f32_e32 v22, v44, v46
	v_fmac_f32_e32 v26, 0xbf5db3d7, v29
	v_fmac_f32_e32 v24, 0x3f5db3d7, v29
	v_add_f32_e32 v29, v64, v54
	v_fma_f32 v64, -0.5, v30, v64
	v_add3_u32 v0, 0, v0, v61
	v_fmac_f32_e32 v68, v73, v23
	v_sub_f32_e32 v21, v36, v38
	v_mov_b32_e32 v20, v42
	v_fma_f32 v23, -0.5, v22, v62
	v_sub_f32_e32 v30, v55, v66
	v_mov_b32_e32 v31, v64
	v_add_f32_e32 v32, v55, v66
	ds_write2_b64 v0, v[11:12], v[15:16] offset0:78 offset1:91
	ds_write_b64 v0, v[13:14] offset:832
	v_lshlrev_b32_sdwa v0, v3, v80 dst_sel:DWORD dst_unused:UNUSED_PAD src0_sel:DWORD src1_sel:BYTE_0
	v_fmac_f32_e32 v70, v79, v25
	v_add_f32_e32 v17, v17, v38
	v_add_f32_e32 v18, v18, v43
	v_fmac_f32_e32 v20, 0xbf5db3d7, v21
	v_sub_f32_e32 v22, v45, v53
	v_mov_b32_e32 v25, v23
	v_fmac_f32_e32 v31, 0x3f5db3d7, v30
	v_fmac_f32_e32 v64, 0xbf5db3d7, v30
	v_add_f32_e32 v30, v65, v55
	v_fmac_f32_e32 v65, -0.5, v32
	v_add3_u32 v0, 0, v0, v61
	v_fmac_f32_e32 v42, 0x3f5db3d7, v21
	v_add_f32_e32 v21, v62, v44
	v_fmac_f32_e32 v25, 0x3f5db3d7, v22
	v_fmac_f32_e32 v23, 0xbf5db3d7, v22
	v_add_f32_e32 v22, v63, v45
	v_sub_f32_e32 v33, v54, v56
	v_mov_b32_e32 v32, v65
	v_add_f32_e32 v34, v67, v69
	ds_write2_b64 v0, v[17:18], v[19:20] offset0:117 offset1:130
	ds_write_b64 v0, v[41:42] offset:1144
	v_lshlrev_b32_sdwa v0, v3, v81 dst_sel:DWORD dst_unused:UNUSED_PAD src0_sel:DWORD src1_sel:BYTE_0
	v_add_f32_e32 v21, v21, v46
	v_add_f32_e32 v22, v22, v53
	v_fmac_f32_e32 v32, 0xbf5db3d7, v33
	v_fmac_f32_e32 v65, 0x3f5db3d7, v33
	v_add_f32_e32 v33, v27, v67
	v_fma_f32 v27, -0.5, v34, v27
	v_add3_u32 v0, 0, v0, v61
	v_sub_f32_e32 v34, v68, v70
	v_mov_b32_e32 v35, v27
	v_add_f32_e32 v36, v68, v70
	ds_write2_b64 v0, v[21:22], v[25:26] offset0:156 offset1:169
	ds_write_b64 v0, v[23:24] offset:1456
	v_lshlrev_b32_sdwa v0, v3, v82 dst_sel:DWORD dst_unused:UNUSED_PAD src0_sel:DWORD src1_sel:BYTE_0
	v_add_f32_e32 v29, v29, v56
	v_add_f32_e32 v30, v30, v66
	v_fmac_f32_e32 v35, 0x3f5db3d7, v34
	v_fmac_f32_e32 v27, 0xbf5db3d7, v34
	v_add_f32_e32 v34, v28, v68
	v_fmac_f32_e32 v28, -0.5, v36
	v_add3_u32 v0, 0, v0, v61
	v_sub_f32_e32 v37, v67, v69
	v_mov_b32_e32 v36, v28
	ds_write2_b64 v0, v[29:30], v[31:32] offset0:195 offset1:208
	ds_write_b64 v0, v[64:65] offset:1768
	v_lshlrev_b32_sdwa v0, v3, v83 dst_sel:DWORD dst_unused:UNUSED_PAD src0_sel:DWORD src1_sel:BYTE_0
	v_add_f32_e32 v33, v33, v69
	v_add_f32_e32 v34, v34, v70
	v_fmac_f32_e32 v36, 0xbf5db3d7, v37
	v_add3_u32 v0, 0, v0, v61
	v_fmac_f32_e32 v28, 0x3f5db3d7, v37
	ds_write2_b64 v0, v[33:34], v[35:36] offset0:234 offset1:247
	ds_write_b64 v0, v[27:28] offset:2080
	v_mul_u32_u24_e32 v0, 6, v50
	v_lshlrev_b32_e32 v41, 3, v0
	s_waitcnt lgkmcnt(0)
	; wave barrier
	s_waitcnt lgkmcnt(0)
	global_load_dwordx4 v[3:6], v41, s[12:13] offset:208
	global_load_dwordx4 v[7:10], v41, s[12:13] offset:224
	global_load_dwordx4 v[11:14], v41, s[12:13] offset:240
	v_mul_i32_i24_e32 v0, 6, v59
	v_lshlrev_b64 v[15:16], 3, v[0:1]
	v_add_co_u32_e64 v39, s[0:1], s12, v15
	v_addc_co_u32_e64 v40, s[0:1], v47, v16, s[0:1]
	global_load_dwordx4 v[15:18], v[39:40], off offset:208
	global_load_dwordx4 v[19:22], v[39:40], off offset:224
	;; [unrolled: 1-line block ×3, first 2 shown]
	global_load_dwordx4 v[27:30], v41, s[12:13] offset:1456
	global_load_dwordx4 v[31:34], v41, s[12:13] offset:1472
	;; [unrolled: 1-line block ×3, first 2 shown]
	ds_read_b64 v[83:84], v60
	ds_read2_b64 v[39:42], v58 offset0:26 offset1:39
	ds_read2_b64 v[43:46], v58 offset0:78 offset1:91
	;; [unrolled: 1-line block ×9, first 2 shown]
	ds_read_b64 v[85:86], v2
	ds_read_b64 v[87:88], v58 offset:2080
	s_mov_b32 s0, 0x3f5ff5aa
	s_mov_b32 s1, 0x3f3bfb3b
	s_waitcnt lgkmcnt(0)
	; wave barrier
	s_waitcnt vmcnt(8) lgkmcnt(0)
	v_mul_f32_e32 v0, v4, v42
	v_mul_f32_e32 v4, v4, v41
	v_fma_f32 v0, v3, v41, -v0
	v_fmac_f32_e32 v4, v3, v42
	v_mul_f32_e32 v3, v6, v44
	v_mul_f32_e32 v6, v6, v43
	v_fma_f32 v3, v5, v43, -v3
	v_fmac_f32_e32 v6, v5, v44
	s_waitcnt vmcnt(7)
	v_mul_f32_e32 v5, v8, v56
	v_mul_f32_e32 v8, v8, v55
	v_fma_f32 v5, v7, v55, -v5
	v_fmac_f32_e32 v8, v7, v56
	v_mul_f32_e32 v7, v10, v60
	v_mul_f32_e32 v10, v10, v59
	v_fma_f32 v7, v9, v59, -v7
	v_fmac_f32_e32 v10, v9, v60
	s_waitcnt vmcnt(6)
	;; [unrolled: 9-line block ×3, first 2 shown]
	v_mul_f32_e32 v13, v72, v16
	v_fma_f32 v41, v71, v15, -v13
	v_mul_f32_e32 v13, v46, v18
	v_fma_f32 v43, v45, v17, -v13
	v_mul_f32_e32 v18, v45, v18
	s_waitcnt vmcnt(4)
	v_mul_f32_e32 v13, v76, v20
	v_fmac_f32_e32 v18, v46, v17
	v_fma_f32 v17, v75, v19, -v13
	v_mul_f32_e32 v20, v75, v20
	v_mul_f32_e32 v13, v62, v22
	v_fmac_f32_e32 v20, v76, v19
	v_fma_f32 v19, v61, v21, -v13
	v_mul_f32_e32 v22, v61, v22
	s_waitcnt vmcnt(3)
	v_mul_f32_e32 v13, v80, v24
	v_fmac_f32_e32 v22, v62, v21
	v_fma_f32 v21, v79, v23, -v13
	v_mul_f32_e32 v24, v79, v24
	v_mul_f32_e32 v13, v70, v26
	v_fmac_f32_e32 v24, v80, v23
	v_fma_f32 v23, v69, v25, -v13
	s_waitcnt vmcnt(2)
	v_mul_f32_e32 v13, v74, v28
	v_fma_f32 v44, v73, v27, -v13
	v_mul_f32_e32 v13, v54, v30
	v_fma_f32 v46, v53, v29, -v13
	s_waitcnt vmcnt(1)
	v_mul_f32_e32 v13, v78, v32
	v_mul_f32_e32 v47, v53, v30
	v_fma_f32 v53, v77, v31, -v13
	v_mul_f32_e32 v32, v77, v32
	v_mul_f32_e32 v13, v64, v34
	v_fmac_f32_e32 v32, v78, v31
	v_fma_f32 v31, v63, v33, -v13
	v_mul_f32_e32 v34, v63, v34
	s_waitcnt vmcnt(0)
	v_mul_f32_e32 v13, v82, v36
	v_fmac_f32_e32 v34, v64, v33
	v_fma_f32 v33, v81, v35, -v13
	v_mul_f32_e32 v36, v81, v36
	v_mul_f32_e32 v13, v88, v38
	;; [unrolled: 1-line block ×3, first 2 shown]
	v_fmac_f32_e32 v36, v82, v35
	v_fma_f32 v35, v87, v37, -v13
	v_add_f32_e32 v13, v0, v11
	v_sub_f32_e32 v0, v0, v11
	v_add_f32_e32 v11, v3, v9
	v_fmac_f32_e32 v42, v72, v15
	v_add_f32_e32 v15, v4, v14
	v_sub_f32_e32 v4, v4, v14
	v_add_f32_e32 v14, v6, v12
	v_sub_f32_e32 v3, v3, v9
	v_sub_f32_e32 v6, v6, v12
	v_add_f32_e32 v9, v5, v7
	v_add_f32_e32 v12, v8, v10
	v_sub_f32_e32 v5, v7, v5
	v_sub_f32_e32 v7, v10, v8
	v_add_f32_e32 v8, v11, v13
	v_mul_f32_e32 v45, v73, v28
	v_mul_f32_e32 v38, v87, v38
	v_add_f32_e32 v10, v14, v15
	v_add_f32_e32 v8, v9, v8
	v_mul_f32_e32 v26, v69, v26
	v_fmac_f32_e32 v45, v74, v27
	v_fmac_f32_e32 v47, v54, v29
	;; [unrolled: 1-line block ×3, first 2 shown]
	v_sub_f32_e32 v16, v11, v13
	v_sub_f32_e32 v13, v13, v9
	;; [unrolled: 1-line block ×3, first 2 shown]
	v_add_f32_e32 v27, v5, v3
	v_add_f32_e32 v28, v7, v6
	v_sub_f32_e32 v29, v5, v3
	v_sub_f32_e32 v37, v3, v0
	v_add_f32_e32 v9, v12, v10
	v_add_f32_e32 v3, v8, v83
	v_fmac_f32_e32 v26, v70, v25
	v_sub_f32_e32 v25, v14, v15
	v_sub_f32_e32 v15, v15, v12
	;; [unrolled: 1-line block ×6, first 2 shown]
	v_add_f32_e32 v10, v28, v4
	v_add_f32_e32 v4, v9, v84
	v_mov_b32_e32 v55, v3
	v_sub_f32_e32 v5, v0, v5
	v_add_f32_e32 v0, v27, v0
	v_mul_f32_e32 v12, 0x3f4a47b2, v13
	v_mul_f32_e32 v13, 0x3f4a47b2, v15
	;; [unrolled: 1-line block ×7, first 2 shown]
	v_fmac_f32_e32 v55, 0xbf955555, v8
	v_mov_b32_e32 v8, v4
	v_mul_f32_e32 v54, 0x3f5ff5aa, v6
	v_fmac_f32_e32 v8, 0xbf955555, v9
	v_fma_f32 v9, v16, s1, -v15
	v_fma_f32 v15, v25, s1, -v27
	;; [unrolled: 1-line block ×3, first 2 shown]
	v_fmac_f32_e32 v12, 0x3d64c772, v11
	v_fma_f32 v11, v25, s4, -v13
	v_fmac_f32_e32 v13, 0x3d64c772, v14
	v_fma_f32 v14, v37, s0, -v28
	v_fma_f32 v25, v6, s0, -v29
	;; [unrolled: 1-line block ×3, first 2 shown]
	v_fmac_f32_e32 v28, 0x3eae86e6, v5
	v_fmac_f32_e32 v29, 0x3eae86e6, v7
	v_fma_f32 v30, v7, s5, -v54
	v_add_f32_e32 v37, v12, v55
	v_add_f32_e32 v54, v13, v8
	;; [unrolled: 1-line block ×6, first 2 shown]
	v_fmac_f32_e32 v14, 0x3ee1c552, v0
	v_fmac_f32_e32 v25, 0x3ee1c552, v10
	;; [unrolled: 1-line block ×6, first 2 shown]
	v_sub_f32_e32 v8, v16, v27
	v_sub_f32_e32 v9, v12, v25
	v_add_f32_e32 v10, v14, v13
	v_add_f32_e32 v11, v25, v12
	v_sub_f32_e32 v12, v13, v14
	v_add_f32_e32 v14, v27, v16
	v_add_f32_e32 v0, v41, v23
	;; [unrolled: 1-line block ×4, first 2 shown]
	v_sub_f32_e32 v6, v54, v28
	v_add_f32_e32 v7, v30, v15
	v_sub_f32_e32 v13, v15, v30
	v_sub_f32_e32 v15, v37, v29
	v_add_f32_e32 v16, v28, v54
	v_add_f32_e32 v25, v42, v26
	;; [unrolled: 1-line block ×3, first 2 shown]
	v_sub_f32_e32 v18, v18, v24
	v_add_f32_e32 v24, v17, v19
	v_add_f32_e32 v29, v20, v22
	v_sub_f32_e32 v17, v19, v17
	v_sub_f32_e32 v19, v22, v20
	v_add_f32_e32 v20, v27, v0
	v_sub_f32_e32 v23, v41, v23
	v_sub_f32_e32 v21, v43, v21
	v_add_f32_e32 v22, v28, v25
	v_add_f32_e32 v20, v24, v20
	v_sub_f32_e32 v26, v42, v26
	v_add_f32_e32 v41, v17, v21
	v_sub_f32_e32 v43, v17, v21
	v_sub_f32_e32 v55, v23, v17
	v_add_f32_e32 v22, v29, v22
	v_add_f32_e32 v17, v20, v85
	v_sub_f32_e32 v30, v27, v0
	v_sub_f32_e32 v37, v28, v25
	;; [unrolled: 1-line block ×6, first 2 shown]
	v_add_f32_e32 v42, v19, v18
	v_sub_f32_e32 v54, v19, v18
	v_sub_f32_e32 v21, v21, v23
	;; [unrolled: 1-line block ×3, first 2 shown]
	v_add_f32_e32 v18, v22, v86
	v_mov_b32_e32 v59, v17
	v_sub_f32_e32 v19, v26, v19
	v_add_f32_e32 v23, v41, v23
	v_add_f32_e32 v24, v42, v26
	v_mul_f32_e32 v0, 0x3f4a47b2, v0
	v_mul_f32_e32 v25, 0x3f4a47b2, v25
	;; [unrolled: 1-line block ×8, first 2 shown]
	v_fmac_f32_e32 v59, 0xbf955555, v20
	v_mov_b32_e32 v20, v18
	v_fmac_f32_e32 v20, 0xbf955555, v22
	v_fma_f32 v22, v30, s1, -v26
	v_fma_f32 v26, v37, s1, -v29
	;; [unrolled: 1-line block ×3, first 2 shown]
	v_fmac_f32_e32 v0, 0x3d64c772, v27
	v_fma_f32 v27, v37, s4, -v25
	v_fmac_f32_e32 v25, 0x3d64c772, v28
	v_fma_f32 v28, v21, s0, -v41
	v_fmac_f32_e32 v41, 0x3eae86e6, v55
	v_fma_f32 v30, v56, s0, -v42
	v_fmac_f32_e32 v42, 0x3eae86e6, v19
	v_fma_f32 v37, v55, s5, -v43
	v_fma_f32 v43, v19, s5, -v54
	v_add_f32_e32 v0, v0, v59
	v_add_f32_e32 v54, v25, v20
	;; [unrolled: 1-line block ×4, first 2 shown]
	v_fmac_f32_e32 v41, 0x3ee1c552, v23
	v_fmac_f32_e32 v42, 0x3ee1c552, v24
	;; [unrolled: 1-line block ×4, first 2 shown]
	v_add_f32_e32 v26, v26, v20
	v_add_f32_e32 v55, v27, v20
	v_fmac_f32_e32 v28, 0x3ee1c552, v23
	v_fmac_f32_e32 v37, 0x3ee1c552, v23
	v_add_f32_e32 v19, v42, v0
	v_sub_f32_e32 v20, v54, v41
	v_add_f32_e32 v21, v43, v29
	v_sub_f32_e32 v23, v25, v30
	;; [unrolled: 2-line block ×3, first 2 shown]
	v_sub_f32_e32 v29, v0, v42
	v_add_f32_e32 v30, v41, v54
	v_add_f32_e32 v0, v44, v35
	;; [unrolled: 1-line block ×3, first 2 shown]
	v_sub_f32_e32 v22, v55, v37
	v_add_f32_e32 v24, v28, v26
	v_sub_f32_e32 v26, v26, v28
	v_add_f32_e32 v28, v37, v55
	v_add_f32_e32 v37, v45, v38
	v_sub_f32_e32 v35, v44, v35
	v_add_f32_e32 v42, v47, v36
	v_add_f32_e32 v43, v53, v31
	;; [unrolled: 1-line block ×3, first 2 shown]
	v_sub_f32_e32 v32, v34, v32
	v_add_f32_e32 v34, v41, v0
	v_sub_f32_e32 v38, v45, v38
	v_sub_f32_e32 v33, v46, v33
	;; [unrolled: 1-line block ×3, first 2 shown]
	v_add_f32_e32 v45, v42, v37
	v_add_f32_e32 v34, v43, v34
	v_sub_f32_e32 v36, v47, v36
	v_sub_f32_e32 v46, v41, v0
	;; [unrolled: 1-line block ×4, first 2 shown]
	v_add_f32_e32 v53, v31, v33
	v_sub_f32_e32 v55, v31, v33
	v_sub_f32_e32 v59, v35, v31
	v_add_f32_e32 v43, v44, v45
	v_add_f32_e32 v31, v34, v39
	v_sub_f32_e32 v47, v42, v37
	v_sub_f32_e32 v37, v37, v44
	;; [unrolled: 1-line block ×3, first 2 shown]
	v_add_f32_e32 v54, v32, v36
	v_sub_f32_e32 v56, v32, v36
	v_sub_f32_e32 v60, v38, v32
	;; [unrolled: 1-line block ×4, first 2 shown]
	v_add_f32_e32 v32, v43, v40
	v_mul_f32_e32 v44, 0xbf08b237, v55
	v_mov_b32_e32 v55, v31
	v_add_f32_e32 v35, v53, v35
	v_add_f32_e32 v38, v54, v38
	v_mul_f32_e32 v0, 0x3f4a47b2, v0
	v_mul_f32_e32 v37, 0x3f4a47b2, v37
	;; [unrolled: 1-line block ×7, first 2 shown]
	v_fmac_f32_e32 v55, 0xbf955555, v34
	v_mov_b32_e32 v34, v32
	v_fmac_f32_e32 v34, 0xbf955555, v43
	v_fma_f32 v39, v46, s1, -v39
	v_fma_f32 v40, v47, s1, -v40
	;; [unrolled: 1-line block ×3, first 2 shown]
	v_fmac_f32_e32 v0, 0x3d64c772, v41
	v_fma_f32 v41, v47, s4, -v37
	v_fmac_f32_e32 v37, 0x3d64c772, v42
	v_fma_f32 v42, v33, s0, -v44
	;; [unrolled: 2-line block ×4, first 2 shown]
	v_fma_f32 v53, v60, s5, -v54
	v_add_f32_e32 v0, v0, v55
	v_add_f32_e32 v54, v37, v34
	;; [unrolled: 1-line block ×6, first 2 shown]
	v_fmac_f32_e32 v44, 0x3ee1c552, v35
	v_fmac_f32_e32 v45, 0x3ee1c552, v38
	;; [unrolled: 1-line block ×6, first 2 shown]
	v_add_f32_e32 v33, v45, v0
	v_sub_f32_e32 v34, v54, v44
	v_add_f32_e32 v35, v53, v43
	v_sub_f32_e32 v36, v55, v47
	v_sub_f32_e32 v37, v39, v46
	v_add_f32_e32 v38, v42, v40
	v_add_f32_e32 v39, v46, v39
	v_sub_f32_e32 v40, v40, v42
	v_sub_f32_e32 v41, v43, v53
	v_add_f32_e32 v42, v47, v55
	v_sub_f32_e32 v43, v0, v45
	v_add_f32_e32 v44, v44, v54
	ds_write_b64 v58, v[3:4]
	ds_write_b64 v58, v[5:6] offset:312
	ds_write_b64 v58, v[7:8] offset:624
	;; [unrolled: 1-line block ×6, first 2 shown]
	ds_write2_b64 v2, v[17:18], v[19:20] offset1:39
	ds_write2_b64 v2, v[21:22], v[23:24] offset0:78 offset1:117
	ds_write2_b64 v2, v[25:26], v[27:28] offset0:156 offset1:195
	ds_write_b64 v2, v[29:30] offset:1872
	ds_write_b64 v58, v[31:32] offset:208
	;; [unrolled: 1-line block ×8, first 2 shown]
	s_waitcnt lgkmcnt(0)
	; wave barrier
	s_waitcnt lgkmcnt(0)
	s_and_saveexec_b64 s[0:1], vcc
	s_cbranch_execz .LBB0_17
; %bb.16:
	v_mul_lo_u32 v0, s3, v51
	v_mul_lo_u32 v2, s2, v52
	v_mad_u64_u32 v[6:7], s[0:1], s2, v51, 0
	v_lshl_add_u32 v8, v50, 3, v57
	v_mov_b32_e32 v51, v1
	v_add3_u32 v7, v7, v2, v0
	v_lshlrev_b64 v[6:7], 3, v[6:7]
	v_mov_b32_e32 v0, s11
	v_add_co_u32_e32 v9, vcc, s10, v6
	v_addc_co_u32_e32 v0, vcc, v0, v7, vcc
	v_lshlrev_b64 v[6:7], 3, v[48:49]
	ds_read2_b64 v[2:5], v8 offset1:13
	v_add_co_u32_e32 v9, vcc, v9, v6
	v_addc_co_u32_e32 v10, vcc, v0, v7, vcc
	v_lshlrev_b64 v[6:7], 3, v[50:51]
	v_add_u32_e32 v0, 13, v50
	v_add_co_u32_e32 v6, vcc, v9, v6
	v_addc_co_u32_e32 v7, vcc, v10, v7, vcc
	s_waitcnt lgkmcnt(0)
	global_store_dwordx2 v[6:7], v[2:3], off
	v_lshlrev_b64 v[2:3], 3, v[0:1]
	v_add_u32_e32 v0, 26, v50
	v_add_co_u32_e32 v2, vcc, v9, v2
	v_addc_co_u32_e32 v3, vcc, v10, v3, vcc
	global_store_dwordx2 v[2:3], v[4:5], off
	ds_read2_b64 v[2:5], v8 offset0:26 offset1:39
	v_lshlrev_b64 v[6:7], 3, v[0:1]
	v_add_u32_e32 v0, 39, v50
	v_add_co_u32_e32 v6, vcc, v9, v6
	v_addc_co_u32_e32 v7, vcc, v10, v7, vcc
	s_waitcnt lgkmcnt(0)
	global_store_dwordx2 v[6:7], v[2:3], off
	v_lshlrev_b64 v[2:3], 3, v[0:1]
	v_add_u32_e32 v0, 52, v50
	v_add_co_u32_e32 v2, vcc, v9, v2
	v_addc_co_u32_e32 v3, vcc, v10, v3, vcc
	global_store_dwordx2 v[2:3], v[4:5], off
	ds_read2_b64 v[2:5], v8 offset0:52 offset1:65
	;; [unrolled: 12-line block ×9, first 2 shown]
	v_lshlrev_b64 v[6:7], 3, v[0:1]
	v_add_u32_e32 v0, 0xf7, v50
	v_add_co_u32_e32 v6, vcc, v9, v6
	v_addc_co_u32_e32 v7, vcc, v10, v7, vcc
	s_waitcnt lgkmcnt(0)
	global_store_dwordx2 v[6:7], v[2:3], off
	v_lshlrev_b64 v[2:3], 3, v[0:1]
	v_add_u32_e32 v0, 0x104, v50
	v_add_co_u32_e32 v2, vcc, v9, v2
	v_addc_co_u32_e32 v3, vcc, v10, v3, vcc
	global_store_dwordx2 v[2:3], v[4:5], off
	ds_read_b64 v[2:3], v8 offset:2080
	v_lshlrev_b64 v[0:1], 3, v[0:1]
	v_add_co_u32_e32 v0, vcc, v9, v0
	v_addc_co_u32_e32 v1, vcc, v10, v1, vcc
	s_waitcnt lgkmcnt(0)
	global_store_dwordx2 v[0:1], v[2:3], off
.LBB0_17:
	s_endpgm
	.section	.rodata,"a",@progbits
	.p2align	6, 0x0
	.amdhsa_kernel fft_rtc_fwd_len273_factors_13_3_7_wgs_52_tpt_13_sp_op_CI_CI_unitstride_sbrr_dirReg
		.amdhsa_group_segment_fixed_size 0
		.amdhsa_private_segment_fixed_size 0
		.amdhsa_kernarg_size 104
		.amdhsa_user_sgpr_count 6
		.amdhsa_user_sgpr_private_segment_buffer 1
		.amdhsa_user_sgpr_dispatch_ptr 0
		.amdhsa_user_sgpr_queue_ptr 0
		.amdhsa_user_sgpr_kernarg_segment_ptr 1
		.amdhsa_user_sgpr_dispatch_id 0
		.amdhsa_user_sgpr_flat_scratch_init 0
		.amdhsa_user_sgpr_private_segment_size 0
		.amdhsa_uses_dynamic_stack 0
		.amdhsa_system_sgpr_private_segment_wavefront_offset 0
		.amdhsa_system_sgpr_workgroup_id_x 1
		.amdhsa_system_sgpr_workgroup_id_y 0
		.amdhsa_system_sgpr_workgroup_id_z 0
		.amdhsa_system_sgpr_workgroup_info 0
		.amdhsa_system_vgpr_workitem_id 0
		.amdhsa_next_free_vgpr 121
		.amdhsa_next_free_sgpr 28
		.amdhsa_reserve_vcc 1
		.amdhsa_reserve_flat_scratch 0
		.amdhsa_float_round_mode_32 0
		.amdhsa_float_round_mode_16_64 0
		.amdhsa_float_denorm_mode_32 3
		.amdhsa_float_denorm_mode_16_64 3
		.amdhsa_dx10_clamp 1
		.amdhsa_ieee_mode 1
		.amdhsa_fp16_overflow 0
		.amdhsa_exception_fp_ieee_invalid_op 0
		.amdhsa_exception_fp_denorm_src 0
		.amdhsa_exception_fp_ieee_div_zero 0
		.amdhsa_exception_fp_ieee_overflow 0
		.amdhsa_exception_fp_ieee_underflow 0
		.amdhsa_exception_fp_ieee_inexact 0
		.amdhsa_exception_int_div_zero 0
	.end_amdhsa_kernel
	.text
.Lfunc_end0:
	.size	fft_rtc_fwd_len273_factors_13_3_7_wgs_52_tpt_13_sp_op_CI_CI_unitstride_sbrr_dirReg, .Lfunc_end0-fft_rtc_fwd_len273_factors_13_3_7_wgs_52_tpt_13_sp_op_CI_CI_unitstride_sbrr_dirReg
                                        ; -- End function
	.section	.AMDGPU.csdata,"",@progbits
; Kernel info:
; codeLenInByte = 11764
; NumSgprs: 32
; NumVgprs: 121
; ScratchSize: 0
; MemoryBound: 0
; FloatMode: 240
; IeeeMode: 1
; LDSByteSize: 0 bytes/workgroup (compile time only)
; SGPRBlocks: 3
; VGPRBlocks: 30
; NumSGPRsForWavesPerEU: 32
; NumVGPRsForWavesPerEU: 121
; Occupancy: 2
; WaveLimiterHint : 1
; COMPUTE_PGM_RSRC2:SCRATCH_EN: 0
; COMPUTE_PGM_RSRC2:USER_SGPR: 6
; COMPUTE_PGM_RSRC2:TRAP_HANDLER: 0
; COMPUTE_PGM_RSRC2:TGID_X_EN: 1
; COMPUTE_PGM_RSRC2:TGID_Y_EN: 0
; COMPUTE_PGM_RSRC2:TGID_Z_EN: 0
; COMPUTE_PGM_RSRC2:TIDIG_COMP_CNT: 0
	.type	__hip_cuid_e3afc78d335705f0,@object ; @__hip_cuid_e3afc78d335705f0
	.section	.bss,"aw",@nobits
	.globl	__hip_cuid_e3afc78d335705f0
__hip_cuid_e3afc78d335705f0:
	.byte	0                               ; 0x0
	.size	__hip_cuid_e3afc78d335705f0, 1

	.ident	"AMD clang version 19.0.0git (https://github.com/RadeonOpenCompute/llvm-project roc-6.4.0 25133 c7fe45cf4b819c5991fe208aaa96edf142730f1d)"
	.section	".note.GNU-stack","",@progbits
	.addrsig
	.addrsig_sym __hip_cuid_e3afc78d335705f0
	.amdgpu_metadata
---
amdhsa.kernels:
  - .args:
      - .actual_access:  read_only
        .address_space:  global
        .offset:         0
        .size:           8
        .value_kind:     global_buffer
      - .offset:         8
        .size:           8
        .value_kind:     by_value
      - .actual_access:  read_only
        .address_space:  global
        .offset:         16
        .size:           8
        .value_kind:     global_buffer
      - .actual_access:  read_only
        .address_space:  global
        .offset:         24
        .size:           8
        .value_kind:     global_buffer
      - .actual_access:  read_only
        .address_space:  global
        .offset:         32
        .size:           8
        .value_kind:     global_buffer
      - .offset:         40
        .size:           8
        .value_kind:     by_value
      - .actual_access:  read_only
        .address_space:  global
        .offset:         48
        .size:           8
        .value_kind:     global_buffer
      - .actual_access:  read_only
        .address_space:  global
        .offset:         56
        .size:           8
        .value_kind:     global_buffer
      - .offset:         64
        .size:           4
        .value_kind:     by_value
      - .actual_access:  read_only
        .address_space:  global
        .offset:         72
        .size:           8
        .value_kind:     global_buffer
      - .actual_access:  read_only
        .address_space:  global
        .offset:         80
        .size:           8
        .value_kind:     global_buffer
      - .actual_access:  read_only
        .address_space:  global
        .offset:         88
        .size:           8
        .value_kind:     global_buffer
      - .actual_access:  write_only
        .address_space:  global
        .offset:         96
        .size:           8
        .value_kind:     global_buffer
    .group_segment_fixed_size: 0
    .kernarg_segment_align: 8
    .kernarg_segment_size: 104
    .language:       OpenCL C
    .language_version:
      - 2
      - 0
    .max_flat_workgroup_size: 52
    .name:           fft_rtc_fwd_len273_factors_13_3_7_wgs_52_tpt_13_sp_op_CI_CI_unitstride_sbrr_dirReg
    .private_segment_fixed_size: 0
    .sgpr_count:     32
    .sgpr_spill_count: 0
    .symbol:         fft_rtc_fwd_len273_factors_13_3_7_wgs_52_tpt_13_sp_op_CI_CI_unitstride_sbrr_dirReg.kd
    .uniform_work_group_size: 1
    .uses_dynamic_stack: false
    .vgpr_count:     121
    .vgpr_spill_count: 0
    .wavefront_size: 64
amdhsa.target:   amdgcn-amd-amdhsa--gfx906
amdhsa.version:
  - 1
  - 2
...

	.end_amdgpu_metadata
